;; amdgpu-corpus repo=ROCm/rocFFT kind=compiled arch=gfx906 opt=O3
	.text
	.amdgcn_target "amdgcn-amd-amdhsa--gfx906"
	.amdhsa_code_object_version 6
	.protected	fft_rtc_back_len1386_factors_2_7_3_11_3_wgs_231_tpt_231_halfLds_dp_ip_CI_unitstride_sbrr_C2R_dirReg ; -- Begin function fft_rtc_back_len1386_factors_2_7_3_11_3_wgs_231_tpt_231_halfLds_dp_ip_CI_unitstride_sbrr_C2R_dirReg
	.globl	fft_rtc_back_len1386_factors_2_7_3_11_3_wgs_231_tpt_231_halfLds_dp_ip_CI_unitstride_sbrr_C2R_dirReg
	.p2align	8
	.type	fft_rtc_back_len1386_factors_2_7_3_11_3_wgs_231_tpt_231_halfLds_dp_ip_CI_unitstride_sbrr_C2R_dirReg,@function
fft_rtc_back_len1386_factors_2_7_3_11_3_wgs_231_tpt_231_halfLds_dp_ip_CI_unitstride_sbrr_C2R_dirReg: ; @fft_rtc_back_len1386_factors_2_7_3_11_3_wgs_231_tpt_231_halfLds_dp_ip_CI_unitstride_sbrr_C2R_dirReg
; %bb.0:
	s_load_dwordx2 s[2:3], s[4:5], 0x50
	s_load_dwordx4 s[8:11], s[4:5], 0x0
	s_load_dwordx2 s[12:13], s[4:5], 0x18
	v_mul_u32_u24_e32 v1, 0x11c, v0
	v_add_u32_sdwa v5, s6, v1 dst_sel:DWORD dst_unused:UNUSED_PAD src0_sel:DWORD src1_sel:WORD_1
	v_mov_b32_e32 v3, 0
	s_waitcnt lgkmcnt(0)
	v_cmp_lt_u64_e64 s[0:1], s[10:11], 2
	v_mov_b32_e32 v1, 0
	v_mov_b32_e32 v6, v3
	s_and_b64 vcc, exec, s[0:1]
	v_mov_b32_e32 v2, 0
	s_cbranch_vccnz .LBB0_8
; %bb.1:
	s_load_dwordx2 s[0:1], s[4:5], 0x10
	s_add_u32 s6, s12, 8
	s_addc_u32 s7, s13, 0
	v_mov_b32_e32 v1, 0
	v_mov_b32_e32 v2, 0
	s_waitcnt lgkmcnt(0)
	s_add_u32 s14, s0, 8
	s_addc_u32 s15, s1, 0
	s_mov_b64 s[16:17], 1
.LBB0_2:                                ; =>This Inner Loop Header: Depth=1
	s_load_dwordx2 s[18:19], s[14:15], 0x0
                                        ; implicit-def: $vgpr7_vgpr8
	s_waitcnt lgkmcnt(0)
	v_or_b32_e32 v4, s19, v6
	v_cmp_ne_u64_e32 vcc, 0, v[3:4]
	s_and_saveexec_b64 s[0:1], vcc
	s_xor_b64 s[20:21], exec, s[0:1]
	s_cbranch_execz .LBB0_4
; %bb.3:                                ;   in Loop: Header=BB0_2 Depth=1
	v_cvt_f32_u32_e32 v4, s18
	v_cvt_f32_u32_e32 v7, s19
	s_sub_u32 s0, 0, s18
	s_subb_u32 s1, 0, s19
	v_mac_f32_e32 v4, 0x4f800000, v7
	v_rcp_f32_e32 v4, v4
	v_mul_f32_e32 v4, 0x5f7ffffc, v4
	v_mul_f32_e32 v7, 0x2f800000, v4
	v_trunc_f32_e32 v7, v7
	v_mac_f32_e32 v4, 0xcf800000, v7
	v_cvt_u32_f32_e32 v7, v7
	v_cvt_u32_f32_e32 v4, v4
	v_mul_lo_u32 v8, s0, v7
	v_mul_hi_u32 v9, s0, v4
	v_mul_lo_u32 v11, s1, v4
	v_mul_lo_u32 v10, s0, v4
	v_add_u32_e32 v8, v9, v8
	v_add_u32_e32 v8, v8, v11
	v_mul_hi_u32 v9, v4, v10
	v_mul_lo_u32 v11, v4, v8
	v_mul_hi_u32 v13, v4, v8
	v_mul_hi_u32 v12, v7, v10
	v_mul_lo_u32 v10, v7, v10
	v_mul_hi_u32 v14, v7, v8
	v_add_co_u32_e32 v9, vcc, v9, v11
	v_addc_co_u32_e32 v11, vcc, 0, v13, vcc
	v_mul_lo_u32 v8, v7, v8
	v_add_co_u32_e32 v9, vcc, v9, v10
	v_addc_co_u32_e32 v9, vcc, v11, v12, vcc
	v_addc_co_u32_e32 v10, vcc, 0, v14, vcc
	v_add_co_u32_e32 v8, vcc, v9, v8
	v_addc_co_u32_e32 v9, vcc, 0, v10, vcc
	v_add_co_u32_e32 v4, vcc, v4, v8
	v_addc_co_u32_e32 v7, vcc, v7, v9, vcc
	v_mul_lo_u32 v8, s0, v7
	v_mul_hi_u32 v9, s0, v4
	v_mul_lo_u32 v10, s1, v4
	v_mul_lo_u32 v11, s0, v4
	v_add_u32_e32 v8, v9, v8
	v_add_u32_e32 v8, v8, v10
	v_mul_lo_u32 v12, v4, v8
	v_mul_hi_u32 v13, v4, v11
	v_mul_hi_u32 v14, v4, v8
	;; [unrolled: 1-line block ×3, first 2 shown]
	v_mul_lo_u32 v11, v7, v11
	v_mul_hi_u32 v9, v7, v8
	v_add_co_u32_e32 v12, vcc, v13, v12
	v_addc_co_u32_e32 v13, vcc, 0, v14, vcc
	v_mul_lo_u32 v8, v7, v8
	v_add_co_u32_e32 v11, vcc, v12, v11
	v_addc_co_u32_e32 v10, vcc, v13, v10, vcc
	v_addc_co_u32_e32 v9, vcc, 0, v9, vcc
	v_add_co_u32_e32 v8, vcc, v10, v8
	v_addc_co_u32_e32 v9, vcc, 0, v9, vcc
	v_add_co_u32_e32 v4, vcc, v4, v8
	v_addc_co_u32_e32 v9, vcc, v7, v9, vcc
	v_mad_u64_u32 v[7:8], s[0:1], v5, v9, 0
	v_mul_hi_u32 v10, v5, v4
	v_add_co_u32_e32 v11, vcc, v10, v7
	v_addc_co_u32_e32 v12, vcc, 0, v8, vcc
	v_mad_u64_u32 v[7:8], s[0:1], v6, v4, 0
	v_mad_u64_u32 v[9:10], s[0:1], v6, v9, 0
	v_add_co_u32_e32 v4, vcc, v11, v7
	v_addc_co_u32_e32 v4, vcc, v12, v8, vcc
	v_addc_co_u32_e32 v7, vcc, 0, v10, vcc
	v_add_co_u32_e32 v4, vcc, v4, v9
	v_addc_co_u32_e32 v9, vcc, 0, v7, vcc
	v_mul_lo_u32 v10, s19, v4
	v_mul_lo_u32 v11, s18, v9
	v_mad_u64_u32 v[7:8], s[0:1], s18, v4, 0
	v_add3_u32 v8, v8, v11, v10
	v_sub_u32_e32 v10, v6, v8
	v_mov_b32_e32 v11, s19
	v_sub_co_u32_e32 v7, vcc, v5, v7
	v_subb_co_u32_e64 v10, s[0:1], v10, v11, vcc
	v_subrev_co_u32_e64 v11, s[0:1], s18, v7
	v_subbrev_co_u32_e64 v10, s[0:1], 0, v10, s[0:1]
	v_cmp_le_u32_e64 s[0:1], s19, v10
	v_cndmask_b32_e64 v12, 0, -1, s[0:1]
	v_cmp_le_u32_e64 s[0:1], s18, v11
	v_cndmask_b32_e64 v11, 0, -1, s[0:1]
	v_cmp_eq_u32_e64 s[0:1], s19, v10
	v_cndmask_b32_e64 v10, v12, v11, s[0:1]
	v_add_co_u32_e64 v11, s[0:1], 2, v4
	v_addc_co_u32_e64 v12, s[0:1], 0, v9, s[0:1]
	v_add_co_u32_e64 v13, s[0:1], 1, v4
	v_addc_co_u32_e64 v14, s[0:1], 0, v9, s[0:1]
	v_subb_co_u32_e32 v8, vcc, v6, v8, vcc
	v_cmp_ne_u32_e64 s[0:1], 0, v10
	v_cmp_le_u32_e32 vcc, s19, v8
	v_cndmask_b32_e64 v10, v14, v12, s[0:1]
	v_cndmask_b32_e64 v12, 0, -1, vcc
	v_cmp_le_u32_e32 vcc, s18, v7
	v_cndmask_b32_e64 v7, 0, -1, vcc
	v_cmp_eq_u32_e32 vcc, s19, v8
	v_cndmask_b32_e32 v7, v12, v7, vcc
	v_cmp_ne_u32_e32 vcc, 0, v7
	v_cndmask_b32_e64 v7, v13, v11, s[0:1]
	v_cndmask_b32_e32 v8, v9, v10, vcc
	v_cndmask_b32_e32 v7, v4, v7, vcc
.LBB0_4:                                ;   in Loop: Header=BB0_2 Depth=1
	s_andn2_saveexec_b64 s[0:1], s[20:21]
	s_cbranch_execz .LBB0_6
; %bb.5:                                ;   in Loop: Header=BB0_2 Depth=1
	v_cvt_f32_u32_e32 v4, s18
	s_sub_i32 s20, 0, s18
	v_rcp_iflag_f32_e32 v4, v4
	v_mul_f32_e32 v4, 0x4f7ffffe, v4
	v_cvt_u32_f32_e32 v4, v4
	v_mul_lo_u32 v7, s20, v4
	v_mul_hi_u32 v7, v4, v7
	v_add_u32_e32 v4, v4, v7
	v_mul_hi_u32 v4, v5, v4
	v_mul_lo_u32 v7, v4, s18
	v_add_u32_e32 v8, 1, v4
	v_sub_u32_e32 v7, v5, v7
	v_subrev_u32_e32 v9, s18, v7
	v_cmp_le_u32_e32 vcc, s18, v7
	v_cndmask_b32_e32 v7, v7, v9, vcc
	v_cndmask_b32_e32 v4, v4, v8, vcc
	v_add_u32_e32 v8, 1, v4
	v_cmp_le_u32_e32 vcc, s18, v7
	v_cndmask_b32_e32 v7, v4, v8, vcc
	v_mov_b32_e32 v8, v3
.LBB0_6:                                ;   in Loop: Header=BB0_2 Depth=1
	s_or_b64 exec, exec, s[0:1]
	v_mul_lo_u32 v4, v8, s18
	v_mul_lo_u32 v11, v7, s19
	v_mad_u64_u32 v[9:10], s[0:1], v7, s18, 0
	s_load_dwordx2 s[0:1], s[6:7], 0x0
	s_add_u32 s16, s16, 1
	v_add3_u32 v4, v10, v11, v4
	v_sub_co_u32_e32 v5, vcc, v5, v9
	v_subb_co_u32_e32 v4, vcc, v6, v4, vcc
	s_waitcnt lgkmcnt(0)
	v_mul_lo_u32 v4, s0, v4
	v_mul_lo_u32 v6, s1, v5
	v_mad_u64_u32 v[1:2], s[0:1], s0, v5, v[1:2]
	s_addc_u32 s17, s17, 0
	s_add_u32 s6, s6, 8
	v_add3_u32 v2, v6, v2, v4
	v_mov_b32_e32 v4, s10
	v_mov_b32_e32 v5, s11
	s_addc_u32 s7, s7, 0
	v_cmp_ge_u64_e32 vcc, s[16:17], v[4:5]
	s_add_u32 s14, s14, 8
	s_addc_u32 s15, s15, 0
	s_cbranch_vccnz .LBB0_9
; %bb.7:                                ;   in Loop: Header=BB0_2 Depth=1
	v_mov_b32_e32 v5, v7
	v_mov_b32_e32 v6, v8
	s_branch .LBB0_2
.LBB0_8:
	v_mov_b32_e32 v8, v6
	v_mov_b32_e32 v7, v5
.LBB0_9:
	s_lshl_b64 s[0:1], s[10:11], 3
	s_add_u32 s0, s12, s0
	s_addc_u32 s1, s13, s1
	s_load_dwordx2 s[6:7], s[0:1], 0x0
	s_load_dwordx2 s[10:11], s[4:5], 0x20
	s_waitcnt lgkmcnt(0)
	v_mad_u64_u32 v[1:2], s[0:1], s6, v7, v[1:2]
	v_mul_lo_u32 v3, s6, v8
	v_mul_lo_u32 v4, s7, v7
	s_mov_b32 s0, 0x11bb4a5
	v_mul_hi_u32 v5, v0, s0
	v_cmp_gt_u64_e64 s[0:1], s[10:11], v[7:8]
	v_add3_u32 v2, v4, v2, v3
	v_lshlrev_b64 v[46:47], 4, v[1:2]
	v_mul_u32_u24_e32 v3, 0xe7, v5
	v_sub_u32_e32 v44, v0, v3
	s_and_saveexec_b64 s[4:5], s[0:1]
	s_cbranch_execz .LBB0_13
; %bb.10:
	v_mov_b32_e32 v45, 0
	v_mov_b32_e32 v0, s3
	v_add_co_u32_e32 v1, vcc, s2, v46
	v_lshlrev_b64 v[2:3], 4, v[44:45]
	v_addc_co_u32_e32 v0, vcc, v0, v47, vcc
	v_add_co_u32_e32 v10, vcc, v1, v2
	v_addc_co_u32_e32 v11, vcc, v0, v3, vcc
	v_add_co_u32_e32 v26, vcc, 0x1000, v10
	;; [unrolled: 2-line block ×5, first 2 shown]
	global_load_dwordx4 v[2:5], v[10:11], off
	global_load_dwordx4 v[6:9], v[10:11], off offset:3696
	v_addc_co_u32_e32 v33, vcc, 0, v11, vcc
	global_load_dwordx4 v[10:13], v[26:27], off offset:3296
	global_load_dwordx4 v[14:17], v[28:29], off offset:2896
	;; [unrolled: 1-line block ×4, first 2 shown]
	s_movk_i32 s6, 0xe6
	v_lshl_add_u32 v26, v44, 4, 0
	v_cmp_eq_u32_e32 vcc, s6, v44
	s_waitcnt vmcnt(5)
	ds_write_b128 v26, v[2:5]
	s_waitcnt vmcnt(4)
	ds_write_b128 v26, v[6:9] offset:3696
	s_waitcnt vmcnt(3)
	ds_write_b128 v26, v[10:13] offset:7392
	s_waitcnt vmcnt(2)
	ds_write_b128 v26, v[14:17] offset:11088
	s_waitcnt vmcnt(1)
	ds_write_b128 v26, v[18:21] offset:14784
	s_waitcnt vmcnt(0)
	ds_write_b128 v26, v[22:25] offset:18480
	s_and_saveexec_b64 s[6:7], vcc
	s_cbranch_execz .LBB0_12
; %bb.11:
	v_add_co_u32_e32 v1, vcc, 0x5000, v1
	v_addc_co_u32_e32 v2, vcc, 0, v0, vcc
	global_load_dwordx4 v[0:3], v[1:2], off offset:1696
	v_mov_b32_e32 v44, 0xe6
	s_waitcnt vmcnt(0)
	ds_write_b128 v45, v[0:3] offset:22176
.LBB0_12:
	s_or_b64 exec, exec, s[6:7]
.LBB0_13:
	s_or_b64 exec, exec, s[4:5]
	v_lshlrev_b32_e32 v0, 4, v44
	v_add_u32_e32 v95, 0, v0
	s_waitcnt lgkmcnt(0)
	s_barrier
	v_sub_u32_e32 v10, 0, v0
	ds_read_b64 v[6:7], v95
	ds_read_b64 v[8:9], v10 offset:22176
	s_add_u32 s6, s8, 0x5680
	s_addc_u32 s7, s9, 0
	v_cmp_ne_u32_e32 vcc, 0, v44
                                        ; implicit-def: $vgpr4_vgpr5
	s_waitcnt lgkmcnt(0)
	v_add_f64 v[0:1], v[6:7], v[8:9]
	v_add_f64 v[2:3], v[6:7], -v[8:9]
	s_and_saveexec_b64 s[4:5], vcc
	s_xor_b64 s[4:5], exec, s[4:5]
	s_cbranch_execz .LBB0_15
; %bb.14:
	v_mov_b32_e32 v45, 0
	v_lshlrev_b64 v[0:1], 4, v[44:45]
	v_mov_b32_e32 v2, s7
	v_add_co_u32_e32 v0, vcc, s6, v0
	v_addc_co_u32_e32 v1, vcc, v2, v1, vcc
	global_load_dwordx4 v[2:5], v[0:1], off
	ds_read_b64 v[0:1], v10 offset:22184
	ds_read_b64 v[11:12], v95 offset:8
	v_add_f64 v[13:14], v[6:7], v[8:9]
	v_add_f64 v[8:9], v[6:7], -v[8:9]
	s_waitcnt lgkmcnt(0)
	v_add_f64 v[15:16], v[0:1], v[11:12]
	v_add_f64 v[0:1], v[11:12], -v[0:1]
	s_waitcnt vmcnt(0)
	v_fma_f64 v[6:7], -v[8:9], v[4:5], v[13:14]
	v_fma_f64 v[11:12], v[15:16], v[4:5], -v[0:1]
	v_fma_f64 v[13:14], v[8:9], v[4:5], v[13:14]
	v_fma_f64 v[17:18], v[15:16], v[4:5], v[0:1]
	;; [unrolled: 1-line block ×4, first 2 shown]
	v_fma_f64 v[0:1], -v[15:16], v[2:3], v[13:14]
	v_fma_f64 v[2:3], v[8:9], v[2:3], v[17:18]
	ds_write_b128 v10, v[4:7] offset:22176
	v_mov_b32_e32 v4, v44
	v_mov_b32_e32 v5, v45
.LBB0_15:
	s_andn2_saveexec_b64 s[4:5], s[4:5]
	s_cbranch_execz .LBB0_17
; %bb.16:
	v_mov_b32_e32 v8, 0
	ds_read_b128 v[4:7], v8 offset:11088
	s_waitcnt lgkmcnt(0)
	v_add_f64 v[11:12], v[4:5], v[4:5]
	v_mul_f64 v[13:14], v[6:7], -2.0
	v_mov_b32_e32 v4, 0
	v_mov_b32_e32 v5, 0
	ds_write_b128 v8, v[11:14] offset:11088
.LBB0_17:
	s_or_b64 exec, exec, s[4:5]
	v_lshlrev_b64 v[4:5], 4, v[4:5]
	v_mov_b32_e32 v6, s7
	v_add_co_u32_e32 v8, vcc, s6, v4
	v_addc_co_u32_e32 v9, vcc, v6, v5, vcc
	global_load_dwordx4 v[4:7], v[8:9], off offset:3696
	s_movk_i32 s4, 0x1000
	v_add_co_u32_e32 v8, vcc, s4, v8
	v_addc_co_u32_e32 v9, vcc, 0, v9, vcc
	global_load_dwordx4 v[11:14], v[8:9], off offset:3296
	ds_write_b128 v95, v[0:3]
	ds_read_b128 v[0:3], v95 offset:3696
	ds_read_b128 v[15:18], v10 offset:18480
	s_movk_i32 s4, 0xc6
	v_lshl_add_u32 v28, v44, 4, v95
	v_add_u32_e32 v45, 0xe7, v44
	v_cmp_gt_u32_e32 vcc, s4, v44
	s_waitcnt lgkmcnt(0)
	v_add_f64 v[8:9], v[0:1], v[15:16]
	v_add_f64 v[19:20], v[17:18], v[2:3]
	v_add_f64 v[15:16], v[0:1], -v[15:16]
	v_add_f64 v[0:1], v[2:3], -v[17:18]
	v_lshl_add_u32 v29, v44, 5, 0
	v_lshl_add_u32 v30, v45, 5, 0
	s_waitcnt vmcnt(1)
	v_fma_f64 v[2:3], v[15:16], v[6:7], v[8:9]
	v_fma_f64 v[17:18], v[19:20], v[6:7], v[0:1]
	v_fma_f64 v[8:9], -v[15:16], v[6:7], v[8:9]
	v_fma_f64 v[21:22], v[19:20], v[6:7], -v[0:1]
	v_fma_f64 v[0:1], -v[19:20], v[4:5], v[2:3]
	v_fma_f64 v[2:3], v[15:16], v[4:5], v[17:18]
	v_fma_f64 v[6:7], v[19:20], v[4:5], v[8:9]
	;; [unrolled: 1-line block ×3, first 2 shown]
	ds_write_b128 v95, v[0:3] offset:3696
	ds_write_b128 v10, v[6:9] offset:18480
	ds_read_b128 v[0:3], v95 offset:7392
	ds_read_b128 v[4:7], v10 offset:14784
	s_waitcnt lgkmcnt(0)
	v_add_f64 v[8:9], v[0:1], v[4:5]
	v_add_f64 v[15:16], v[6:7], v[2:3]
	v_add_f64 v[17:18], v[0:1], -v[4:5]
	v_add_f64 v[0:1], v[2:3], -v[6:7]
	s_waitcnt vmcnt(0)
	v_fma_f64 v[2:3], v[17:18], v[13:14], v[8:9]
	v_fma_f64 v[4:5], v[15:16], v[13:14], v[0:1]
	v_fma_f64 v[6:7], -v[17:18], v[13:14], v[8:9]
	v_fma_f64 v[8:9], v[15:16], v[13:14], -v[0:1]
	v_fma_f64 v[0:1], -v[15:16], v[11:12], v[2:3]
	v_fma_f64 v[2:3], v[17:18], v[11:12], v[4:5]
	v_fma_f64 v[4:5], v[15:16], v[11:12], v[6:7]
	;; [unrolled: 1-line block ×3, first 2 shown]
	ds_write_b128 v95, v[0:3] offset:7392
	ds_write_b128 v10, v[4:7] offset:14784
	s_waitcnt lgkmcnt(0)
	s_barrier
	s_barrier
	ds_read_b128 v[0:3], v95 offset:11088
	ds_read_b128 v[8:11], v95
	ds_read_b128 v[16:19], v95 offset:3696
	ds_read_b128 v[12:15], v95 offset:14784
	;; [unrolled: 1-line block ×4, first 2 shown]
	s_waitcnt lgkmcnt(4)
	v_add_f64 v[4:5], v[8:9], -v[0:1]
	v_add_f64 v[6:7], v[10:11], -v[2:3]
	s_waitcnt lgkmcnt(2)
	v_add_f64 v[12:13], v[16:17], -v[12:13]
	v_add_f64 v[14:15], v[18:19], -v[14:15]
	;; [unrolled: 3-line block ×3, first 2 shown]
	s_barrier
	v_fma_f64 v[0:1], v[8:9], 2.0, -v[4:5]
	v_fma_f64 v[2:3], v[10:11], 2.0, -v[6:7]
	;; [unrolled: 1-line block ×6, first 2 shown]
	ds_write_b128 v28, v[4:7] offset:16
	ds_write_b128 v30, v[12:15] offset:16
	;; [unrolled: 1-line block ×3, first 2 shown]
	ds_write_b128 v28, v[0:3]
	ds_write_b128 v30, v[8:11]
	ds_write_b128 v29, v[16:19] offset:14784
	s_waitcnt lgkmcnt(0)
	s_barrier
	s_waitcnt lgkmcnt(0)
                                        ; implicit-def: $vgpr26_vgpr27
	s_and_saveexec_b64 s[4:5], vcc
	s_cbranch_execz .LBB0_19
; %bb.18:
	ds_read_b128 v[0:3], v95
	ds_read_b128 v[4:7], v95 offset:3168
	ds_read_b128 v[8:11], v95 offset:6336
	;; [unrolled: 1-line block ×6, first 2 shown]
.LBB0_19:
	s_or_b64 exec, exec, s[4:5]
	v_and_b32_e32 v60, 1, v44
	v_mul_u32_u24_e32 v28, 6, v60
	v_lshlrev_b32_e32 v56, 4, v28
	global_load_dwordx4 v[28:31], v56, s[8:9]
	global_load_dwordx4 v[32:35], v56, s[8:9] offset:16
	global_load_dwordx4 v[36:39], v56, s[8:9] offset:32
	;; [unrolled: 1-line block ×5, first 2 shown]
	s_mov_b32 s4, 0x37e14327
	s_mov_b32 s12, 0xb247c609
	;; [unrolled: 1-line block ×10, first 2 shown]
	s_waitcnt vmcnt(0) lgkmcnt(0)
	s_barrier
	v_mul_f64 v[56:57], v[6:7], v[30:31]
	v_mul_f64 v[30:31], v[4:5], v[30:31]
	;; [unrolled: 1-line block ×12, first 2 shown]
	v_fma_f64 v[4:5], v[4:5], v[28:29], v[56:57]
	v_fma_f64 v[6:7], v[6:7], v[28:29], -v[30:31]
	v_fma_f64 v[28:29], v[8:9], v[32:33], v[58:59]
	v_fma_f64 v[30:31], v[10:11], v[32:33], -v[34:35]
	;; [unrolled: 2-line block ×3, first 2 shown]
	v_fma_f64 v[12:13], v[24:25], v[52:53], v[67:68]
	v_fma_f64 v[14:15], v[20:21], v[48:49], v[65:66]
	v_fma_f64 v[20:21], v[26:27], v[52:53], -v[54:55]
	v_fma_f64 v[22:23], v[22:23], v[48:49], -v[50:51]
	v_fma_f64 v[16:17], v[16:17], v[40:41], v[63:64]
	v_fma_f64 v[18:19], v[18:19], v[40:41], -v[42:43]
	v_add_f64 v[8:9], v[4:5], v[12:13]
	v_add_f64 v[10:11], v[28:29], v[14:15]
	;; [unrolled: 1-line block ×6, first 2 shown]
	v_add_f64 v[34:35], v[4:5], -v[12:13]
	v_add_f64 v[12:13], v[6:7], -v[20:21]
	;; [unrolled: 1-line block ×5, first 2 shown]
	v_add_f64 v[16:17], v[10:11], v[8:9]
	v_add_f64 v[18:19], v[26:27], v[24:25]
	v_add_f64 v[14:15], v[30:31], -v[22:23]
	v_add_f64 v[20:21], v[8:9], -v[40:41]
	;; [unrolled: 1-line block ×6, first 2 shown]
	v_add_f64 v[32:33], v[4:5], v[38:39]
	v_add_f64 v[52:53], v[4:5], -v[38:39]
	v_add_f64 v[4:5], v[40:41], v[16:17]
	v_add_f64 v[16:17], v[42:43], v[18:19]
	v_add_f64 v[50:51], v[42:43], -v[26:27]
	v_add_f64 v[18:19], v[6:7], v[14:15]
	v_add_f64 v[54:55], v[6:7], -v[14:15]
	v_mul_f64 v[28:29], v[28:29], s[12:13]
	v_mul_f64 v[30:31], v[30:31], s[12:13]
	;; [unrolled: 1-line block ×4, first 2 shown]
	v_add_f64 v[0:1], v[0:1], v[4:5]
	v_add_f64 v[2:3], v[2:3], v[16:17]
	v_add_f64 v[56:57], v[32:33], v[34:35]
	v_add_f64 v[58:59], v[18:19], v[12:13]
	v_fma_f64 v[6:7], v[52:53], s[10:11], v[28:29]
	v_fma_f64 v[18:19], v[54:55], s[10:11], v[30:31]
	;; [unrolled: 1-line block ×6, first 2 shown]
	s_mov_b32 s12, 0x37c3f68c
	s_mov_b32 s13, 0xbfdc38aa
	v_fma_f64 v[20:21], v[56:57], s[12:13], v[6:7]
	v_fma_f64 v[16:17], v[58:59], s[12:13], v[18:19]
	v_add_f64 v[18:19], v[22:23], v[32:33]
	v_add_f64 v[22:23], v[61:62], v[42:43]
	v_add_f64 v[4:5], v[18:19], -v[16:17]
	v_add_f64 v[6:7], v[20:21], v[22:23]
	s_and_saveexec_b64 s[4:5], vcc
	s_cbranch_execz .LBB0_21
; %bb.20:
	v_add_f64 v[34:35], v[38:39], -v[34:35]
	v_add_f64 v[24:25], v[26:27], -v[24:25]
	;; [unrolled: 1-line block ×4, first 2 shown]
	v_mul_f64 v[50:51], v[50:51], s[6:7]
	v_mul_f64 v[38:39], v[52:53], s[10:11]
	;; [unrolled: 1-line block ×4, first 2 shown]
	s_mov_b32 s7, 0x3febfeb5
	s_mov_b32 s6, 0x429ad128
	;; [unrolled: 1-line block ×4, first 2 shown]
	v_fma_f64 v[12:13], v[34:35], s[6:7], -v[28:29]
	v_fma_f64 v[14:15], v[24:25], s[10:11], -v[40:41]
	;; [unrolled: 1-line block ×4, first 2 shown]
	s_mov_b32 s11, 0x3fe77f67
	s_mov_b32 s7, 0xbfebfeb5
	v_mul_f64 v[56:57], v[56:57], s[12:13]
	v_mul_f64 v[58:59], v[58:59], s[12:13]
	v_fma_f64 v[24:25], v[24:25], s[10:11], -v[50:51]
	v_fma_f64 v[30:31], v[34:35], s[6:7], -v[38:39]
	;; [unrolled: 1-line block ×4, first 2 shown]
	v_add_f64 v[36:37], v[14:15], v[42:43]
	v_add_f64 v[26:27], v[26:27], v[32:33]
	;; [unrolled: 1-line block ×8, first 2 shown]
	v_add_f64 v[20:21], v[22:23], -v[20:21]
	v_add_f64 v[18:19], v[16:17], v[18:19]
	v_lshrrev_b32_e32 v16, 1, v44
	v_add_f64 v[8:9], v[26:27], -v[38:39]
	v_add_f64 v[26:27], v[38:39], v[26:27]
	v_add_f64 v[14:15], v[24:25], -v[28:29]
	v_add_f64 v[24:25], v[28:29], v[24:25]
	v_add_f64 v[28:29], v[36:37], -v[34:35]
	v_add_f64 v[22:23], v[32:33], -v[30:31]
	v_add_f64 v[12:13], v[30:31], v[32:33]
	v_add_f64 v[10:11], v[34:35], v[36:37]
	v_mul_u32_u24_e32 v16, 14, v16
	v_or_b32_e32 v16, v16, v60
	v_lshl_add_u32 v16, v16, 4, 0
	ds_write_b128 v16, v[0:3]
	ds_write_b128 v16, v[18:21] offset:32
	ds_write_b128 v16, v[26:29] offset:64
	;; [unrolled: 1-line block ×6, first 2 shown]
.LBB0_21:
	s_or_b64 exec, exec, s[4:5]
	v_lshrrev_b16_e32 v0, 1, v44
	v_and_b32_e32 v49, 0x7f, v0
	v_lshrrev_b16_e32 v0, 1, v45
	v_mul_lo_u16_e32 v12, 0x93, v49
	v_mul_u32_u24_e32 v0, 0x4925, v0
	v_lshrrev_b32_e32 v48, 17, v0
	v_lshrrev_b16_e32 v51, 10, v12
	v_mul_lo_u16_e32 v0, 14, v48
	v_mul_lo_u16_e32 v12, 14, v51
	v_sub_u16_e32 v50, v45, v0
	v_sub_u16_e32 v52, v44, v12
	v_mov_b32_e32 v12, 5
	v_lshlrev_b32_e32 v13, 5, v50
	v_lshlrev_b32_sdwa v20, v12, v52 dst_sel:DWORD dst_unused:UNUSED_PAD src0_sel:DWORD src1_sel:BYTE_0
	s_waitcnt lgkmcnt(0)
	s_barrier
	global_load_dwordx4 v[0:3], v13, s[8:9] offset:208
	global_load_dwordx4 v[8:11], v13, s[8:9] offset:192
	s_nop 0
	global_load_dwordx4 v[12:15], v20, s[8:9] offset:192
	global_load_dwordx4 v[16:19], v20, s[8:9] offset:208
	ds_read_b128 v[20:23], v95
	ds_read_b128 v[24:27], v95 offset:3696
	ds_read_b128 v[28:31], v95 offset:7392
	;; [unrolled: 1-line block ×5, first 2 shown]
	v_mov_b32_e32 v53, 4
	v_mul_u32_u24_e32 v48, 0x2a0, v48
	v_lshlrev_b32_e32 v50, 4, v50
	v_mul_u32_u24_e32 v58, 0x2a0, v51
	v_lshlrev_b32_sdwa v59, v53, v52 dst_sel:DWORD dst_unused:UNUSED_PAD src0_sel:DWORD src1_sel:BYTE_0
	v_add3_u32 v48, 0, v48, v50
	s_mov_b32 s4, 0xe8584caa
	s_mov_b32 s5, 0xbfebb67a
	;; [unrolled: 1-line block ×4, first 2 shown]
	s_movk_i32 s10, 0x7e
	v_cmp_gt_u32_e32 vcc, s10, v44
	s_waitcnt vmcnt(0) lgkmcnt(0)
	s_barrier
	v_mul_f64 v[52:53], v[42:43], v[2:3]
	v_mul_f64 v[50:51], v[34:35], v[10:11]
	;; [unrolled: 1-line block ×8, first 2 shown]
	v_fma_f64 v[32:33], v[32:33], v[8:9], v[50:51]
	v_fma_f64 v[8:9], v[34:35], v[8:9], -v[10:11]
	v_fma_f64 v[10:11], v[40:41], v[0:1], v[52:53]
	v_fma_f64 v[0:1], v[42:43], v[0:1], -v[2:3]
	v_fma_f64 v[2:3], v[28:29], v[12:13], v[54:55]
	v_fma_f64 v[28:29], v[36:37], v[16:17], v[56:57]
	v_fma_f64 v[12:13], v[30:31], v[12:13], -v[14:15]
	v_fma_f64 v[16:17], v[38:39], v[16:17], -v[18:19]
	v_add_f64 v[14:15], v[24:25], v[32:33]
	v_add_f64 v[34:35], v[26:27], v[8:9]
	v_add_f64 v[18:19], v[32:33], v[10:11]
	v_add_f64 v[30:31], v[8:9], -v[0:1]
	v_add_f64 v[8:9], v[8:9], v[0:1]
	v_add_f64 v[36:37], v[2:3], v[28:29]
	v_add_f64 v[32:33], v[32:33], -v[10:11]
	v_add_f64 v[38:39], v[12:13], v[16:17]
	v_add_f64 v[40:41], v[20:21], v[2:3]
	v_add_f64 v[42:43], v[12:13], -v[16:17]
	v_add_f64 v[50:51], v[22:23], v[12:13]
	v_add_f64 v[52:53], v[2:3], -v[28:29]
	v_fma_f64 v[24:25], v[18:19], -0.5, v[24:25]
	v_fma_f64 v[18:19], v[36:37], -0.5, v[20:21]
	;; [unrolled: 1-line block ×4, first 2 shown]
	v_add_f64 v[12:13], v[14:15], v[10:11]
	v_add_f64 v[14:15], v[34:35], v[0:1]
	;; [unrolled: 1-line block ×4, first 2 shown]
	v_fma_f64 v[20:21], v[30:31], s[4:5], v[24:25]
	v_fma_f64 v[8:9], v[42:43], s[4:5], v[18:19]
	;; [unrolled: 1-line block ×8, first 2 shown]
	v_add3_u32 v28, 0, v58, v59
	ds_write_b128 v28, v[0:3]
	ds_write_b128 v28, v[8:11] offset:224
	ds_write_b128 v28, v[16:19] offset:448
	ds_write_b128 v48, v[12:15]
	ds_write_b128 v48, v[20:23] offset:224
	ds_write_b128 v48, v[24:27] offset:448
	s_waitcnt lgkmcnt(0)
	s_barrier
	s_waitcnt lgkmcnt(0)
                                        ; implicit-def: $vgpr42_vgpr43
                                        ; implicit-def: $vgpr38_vgpr39
                                        ; implicit-def: $vgpr30_vgpr31
                                        ; implicit-def: $vgpr34_vgpr35
	s_and_saveexec_b64 s[4:5], vcc
	s_cbranch_execz .LBB0_23
; %bb.22:
	ds_read_b128 v[0:3], v95
	ds_read_b128 v[8:11], v95 offset:2016
	ds_read_b128 v[16:19], v95 offset:4032
	;; [unrolled: 1-line block ×10, first 2 shown]
.LBB0_23:
	s_or_b64 exec, exec, s[4:5]
	v_lshlrev_b32_e32 v48, 1, v45
	s_waitcnt lgkmcnt(0)
	s_barrier
	s_and_saveexec_b64 s[4:5], vcc
	s_cbranch_execz .LBB0_25
; %bb.24:
	v_mul_lo_u16_e32 v45, 49, v49
	v_lshrrev_b16_e32 v45, 10, v45
	v_mul_lo_u16_e32 v49, 42, v45
	v_sub_u16_e32 v96, v44, v49
	v_mov_b32_e32 v49, 10
	v_mul_u32_u24_sdwa v49, v96, v49 dst_sel:DWORD dst_unused:UNUSED_PAD src0_sel:BYTE_0 src1_sel:DWORD
	v_lshlrev_b32_e32 v53, 4, v49
	global_load_dwordx4 v[49:52], v53, s[8:9] offset:704
	global_load_dwordx4 v[57:60], v53, s[8:9] offset:720
	;; [unrolled: 1-line block ×10, first 2 shown]
	s_mov_b32 s10, 0xfd768dbf
	s_mov_b32 s11, 0xbfd207e7
	;; [unrolled: 1-line block ×26, first 2 shown]
	s_waitcnt vmcnt(9)
	v_mul_f64 v[53:54], v[26:27], v[51:52]
	v_mul_f64 v[51:52], v[24:25], v[51:52]
	s_waitcnt vmcnt(8)
	v_mul_f64 v[93:94], v[6:7], v[59:60]
	v_mul_f64 v[59:60], v[4:5], v[59:60]
	;; [unrolled: 3-line block ×3, first 2 shown]
	s_waitcnt vmcnt(3)
	v_mul_f64 v[107:108], v[18:19], v[75:76]
	s_waitcnt vmcnt(2)
	v_mul_f64 v[111:112], v[10:11], v[83:84]
	s_waitcnt vmcnt(1)
	v_mul_f64 v[115:116], v[42:43], v[87:88]
	v_mul_f64 v[109:110], v[16:17], v[75:76]
	v_mul_f64 v[113:114], v[8:9], v[83:84]
	;; [unrolled: 1-line block ×3, first 2 shown]
	s_waitcnt vmcnt(0)
	v_mul_f64 v[119:120], v[38:39], v[91:92]
	v_mul_f64 v[103:104], v[14:15], v[71:72]
	v_fma_f64 v[75:76], v[16:17], v[73:74], v[107:108]
	v_fma_f64 v[87:88], v[8:9], v[81:82], v[111:112]
	;; [unrolled: 1-line block ×3, first 2 shown]
	v_mul_f64 v[71:72], v[12:13], v[71:72]
	v_mul_f64 v[105:106], v[30:31], v[79:80]
	;; [unrolled: 1-line block ×4, first 2 shown]
	v_fma_f64 v[53:54], v[24:25], v[49:50], v[53:54]
	v_fma_f64 v[55:56], v[26:27], v[49:50], -v[51:52]
	v_fma_f64 v[49:50], v[4:5], v[57:58], v[93:94]
	v_fma_f64 v[51:52], v[6:7], v[57:58], -v[59:60]
	;; [unrolled: 2-line block ×3, first 2 shown]
	v_fma_f64 v[93:94], v[10:11], v[81:82], -v[113:114]
	v_fma_f64 v[18:19], v[42:43], v[85:86], -v[117:118]
	v_fma_f64 v[20:21], v[36:37], v[89:90], v[119:120]
	v_add_f64 v[113:114], v[87:88], -v[16:17]
	v_mul_f64 v[99:100], v[34:35], v[67:68]
	v_mul_f64 v[101:102], v[32:33], v[67:68]
	v_fma_f64 v[67:68], v[22:23], v[61:62], -v[63:64]
	v_fma_f64 v[22:23], v[38:39], v[89:90], -v[91:92]
	v_fma_f64 v[73:74], v[12:13], v[69:70], v[103:104]
	v_fma_f64 v[81:82], v[14:15], v[69:70], -v[71:72]
	v_fma_f64 v[12:13], v[28:29], v[77:78], v[105:106]
	v_fma_f64 v[14:15], v[30:31], v[77:78], -v[79:80]
	v_add_f64 v[77:78], v[93:94], v[18:19]
	v_add_f64 v[91:92], v[75:76], -v[20:21]
	v_add_f64 v[85:86], v[93:94], -v[18:19]
	v_mul_f64 v[4:5], v[113:114], s[10:11]
	v_fma_f64 v[24:25], v[32:33], v[65:66], v[99:100]
	v_add_f64 v[61:62], v[83:84], v[22:23]
	v_add_f64 v[69:70], v[87:88], v[16:17]
	v_add_f64 v[71:72], v[83:84], -v[22:23]
	v_add_f64 v[89:90], v[73:74], -v[12:13]
	v_mul_f64 v[8:9], v[91:92], s[26:27]
	v_mul_f64 v[6:7], v[85:86], s[10:11]
	v_fma_f64 v[121:122], v[77:78], s[6:7], v[4:5]
	v_fma_f64 v[26:27], v[34:35], v[65:66], -v[101:102]
	v_add_f64 v[63:64], v[75:76], v[20:21]
	v_add_f64 v[57:58], v[81:82], v[14:15]
	v_add_f64 v[65:66], v[81:82], -v[14:15]
	v_add_f64 v[79:80], v[59:60], -v[24:25]
	v_mul_f64 v[10:11], v[71:72], s[26:27]
	v_mul_f64 v[97:98], v[89:90], s[16:17]
	v_fma_f64 v[123:124], v[69:70], s[6:7], -v[6:7]
	v_fma_f64 v[4:5], v[77:78], s[6:7], -v[4:5]
	v_fma_f64 v[125:126], v[61:62], s[14:15], v[8:9]
	v_fma_f64 v[6:7], v[69:70], s[6:7], v[6:7]
	v_add_f64 v[121:122], v[2:3], v[121:122]
	v_add_f64 v[42:43], v[73:74], v[12:13]
	;; [unrolled: 1-line block ×3, first 2 shown]
	v_add_f64 v[40:41], v[67:68], -v[26:27]
	v_add_f64 v[36:37], v[53:54], -v[49:50]
	v_mul_f64 v[99:100], v[65:66], s[16:17]
	v_mul_f64 v[101:102], v[79:80], s[24:25]
	v_mul_f64 v[103:104], v[113:114], s[16:17]
	v_mul_f64 v[117:118], v[85:86], s[16:17]
	v_fma_f64 v[127:128], v[63:64], s[14:15], -v[10:11]
	v_fma_f64 v[8:9], v[61:62], s[14:15], -v[8:9]
	v_fma_f64 v[10:11], v[63:64], s[14:15], v[10:11]
	v_add_f64 v[123:124], v[0:1], v[123:124]
	v_fma_f64 v[133:134], v[57:58], s[12:13], v[97:98]
	v_add_f64 v[4:5], v[2:3], v[4:5]
	v_add_f64 v[6:7], v[0:1], v[6:7]
	;; [unrolled: 1-line block ×5, first 2 shown]
	v_add_f64 v[34:35], v[55:56], -v[51:52]
	v_mul_f64 v[105:106], v[91:92], s[30:31]
	v_mul_f64 v[107:108], v[40:41], s[24:25]
	v_mul_f64 v[109:110], v[36:37], s[22:23]
	v_mul_f64 v[119:120], v[71:72], s[30:31]
	v_fma_f64 v[129:130], v[77:78], s[12:13], v[103:104]
	v_fma_f64 v[135:136], v[42:43], s[12:13], -v[99:100]
	v_fma_f64 v[97:98], v[57:58], s[12:13], -v[97:98]
	v_fma_f64 v[99:100], v[42:43], s[12:13], v[99:100]
	v_add_f64 v[123:124], v[127:128], v[123:124]
	v_fma_f64 v[125:126], v[38:39], s[18:19], v[101:102]
	v_add_f64 v[4:5], v[8:9], v[4:5]
	v_add_f64 v[6:7], v[10:11], v[6:7]
	;; [unrolled: 1-line block ×3, first 2 shown]
	v_fma_f64 v[121:122], v[69:70], s[12:13], -v[117:118]
	v_add_f64 v[28:29], v[53:54], v[49:50]
	v_mul_f64 v[111:112], v[34:35], s[22:23]
	v_mul_f64 v[115:116], v[89:90], s[28:29]
	v_fma_f64 v[131:132], v[61:62], s[20:21], v[105:106]
	v_fma_f64 v[127:128], v[32:33], s[18:19], -v[107:108]
	v_add_f64 v[129:130], v[2:3], v[129:130]
	v_add_f64 v[10:11], v[135:136], v[123:124]
	v_fma_f64 v[107:108], v[32:33], s[18:19], v[107:108]
	v_fma_f64 v[123:124], v[30:31], s[20:21], v[109:110]
	v_add_f64 v[4:5], v[97:98], v[4:5]
	v_add_f64 v[6:7], v[99:100], v[6:7]
	v_add_f64 v[8:9], v[125:126], v[8:9]
	v_add_f64 v[97:98], v[0:1], v[121:122]
	v_fma_f64 v[99:100], v[63:64], s[20:21], -v[119:120]
	v_mul_f64 v[121:122], v[65:66], s[28:29]
	v_fma_f64 v[101:102], v[38:39], s[18:19], -v[101:102]
	v_add_f64 v[129:130], v[131:132], v[129:130]
	v_add_f64 v[10:11], v[127:128], v[10:11]
	v_fma_f64 v[125:126], v[28:29], s[20:21], -v[111:112]
	v_mul_f64 v[127:128], v[79:80], s[10:11]
	v_fma_f64 v[111:112], v[28:29], s[20:21], v[111:112]
	v_fma_f64 v[131:132], v[57:58], s[14:15], v[115:116]
	v_add_f64 v[97:98], v[99:100], v[97:98]
	v_fma_f64 v[99:100], v[42:43], s[14:15], -v[121:122]
	v_mul_f64 v[133:134], v[40:41], s[10:11]
	v_add_f64 v[107:108], v[107:108], v[6:7]
	v_add_f64 v[6:7], v[123:124], v[8:9]
	v_fma_f64 v[8:9], v[77:78], s[12:13], -v[103:104]
	v_add_f64 v[101:102], v[101:102], v[4:5]
	v_fma_f64 v[109:110], v[30:31], s[20:21], -v[109:110]
	v_add_f64 v[4:5], v[125:126], v[10:11]
	v_add_f64 v[103:104], v[131:132], v[129:130]
	v_fma_f64 v[123:124], v[38:39], s[6:7], v[127:128]
	v_add_f64 v[97:98], v[99:100], v[97:98]
	v_fma_f64 v[99:100], v[32:33], s[6:7], -v[133:134]
	v_fma_f64 v[117:118], v[69:70], s[12:13], v[117:118]
	v_fma_f64 v[105:106], v[61:62], s[20:21], -v[105:106]
	v_add_f64 v[125:126], v[2:3], v[8:9]
	v_add_f64 v[8:9], v[111:112], v[107:108]
	v_mul_f64 v[107:108], v[113:114], s[22:23]
	v_add_f64 v[10:11], v[109:110], v[101:102]
	v_add_f64 v[101:102], v[123:124], v[103:104]
	;; [unrolled: 1-line block ×3, first 2 shown]
	v_fma_f64 v[99:100], v[63:64], s[20:21], v[119:120]
	v_add_f64 v[103:104], v[0:1], v[117:118]
	v_add_f64 v[105:106], v[105:106], v[125:126]
	v_fma_f64 v[109:110], v[57:58], s[14:15], -v[115:116]
	v_fma_f64 v[111:112], v[77:78], s[20:21], v[107:108]
	v_mul_f64 v[115:116], v[91:92], s[34:35]
	v_mul_f64 v[119:120], v[85:86], s[22:23]
	;; [unrolled: 1-line block ×4, first 2 shown]
	v_add_f64 v[99:100], v[99:100], v[103:104]
	v_fma_f64 v[103:104], v[42:43], s[14:15], v[121:122]
	v_add_f64 v[105:106], v[109:110], v[105:106]
	v_add_f64 v[109:110], v[2:3], v[111:112]
	v_fma_f64 v[111:112], v[61:62], s[6:7], v[115:116]
	v_fma_f64 v[129:130], v[69:70], s[20:21], -v[119:120]
	v_mul_f64 v[131:132], v[71:72], s[34:35]
	v_mul_f64 v[121:122], v[34:35], s[24:25]
	v_fma_f64 v[125:126], v[30:31], s[18:19], v[117:118]
	v_add_f64 v[103:104], v[103:104], v[99:100]
	v_fma_f64 v[127:128], v[38:39], s[6:7], -v[127:128]
	v_mul_f64 v[137:138], v[79:80], s[28:29]
	v_add_f64 v[109:110], v[111:112], v[109:110]
	v_fma_f64 v[111:112], v[57:58], s[18:19], v[123:124]
	v_add_f64 v[129:130], v[0:1], v[129:130]
	v_fma_f64 v[139:140], v[63:64], s[6:7], -v[131:132]
	v_mul_f64 v[141:142], v[65:66], s[24:25]
	v_fma_f64 v[133:134], v[32:33], s[6:7], v[133:134]
	v_fma_f64 v[135:136], v[28:29], s[18:19], -v[121:122]
	v_add_f64 v[99:100], v[125:126], v[101:102]
	v_add_f64 v[101:102], v[127:128], v[105:106]
	v_fma_f64 v[105:106], v[30:31], s[18:19], -v[117:118]
	v_add_f64 v[109:110], v[111:112], v[109:110]
	v_fma_f64 v[111:112], v[38:39], s[14:15], v[137:138]
	v_add_f64 v[117:118], v[139:140], v[129:130]
	v_fma_f64 v[125:126], v[42:43], s[18:19], -v[141:142]
	v_mul_f64 v[127:128], v[40:41], s[28:29]
	v_mul_f64 v[129:130], v[36:37], s[16:17]
	v_add_f64 v[133:134], v[133:134], v[103:104]
	v_fma_f64 v[121:122], v[28:29], s[18:19], v[121:122]
	v_fma_f64 v[107:108], v[77:78], s[20:21], -v[107:108]
	s_mov_b32 s25, 0xbfed1bb4
	v_add_f64 v[103:104], v[105:106], v[101:102]
	v_add_f64 v[105:106], v[111:112], v[109:110]
	;; [unrolled: 1-line block ×3, first 2 shown]
	v_fma_f64 v[111:112], v[32:33], s[14:15], -v[127:128]
	v_fma_f64 v[117:118], v[30:31], s[12:13], v[129:130]
	v_fma_f64 v[119:120], v[69:70], s[20:21], v[119:120]
	v_mul_f64 v[125:126], v[113:114], s[24:25]
	v_add_f64 v[101:102], v[121:122], v[133:134]
	v_fma_f64 v[115:116], v[61:62], s[6:7], -v[115:116]
	v_add_f64 v[121:122], v[2:3], v[107:108]
	v_add_f64 v[97:98], v[135:136], v[97:98]
	;; [unrolled: 1-line block ×3, first 2 shown]
	v_fma_f64 v[111:112], v[63:64], s[6:7], v[131:132]
	v_add_f64 v[119:120], v[0:1], v[119:120]
	v_add_f64 v[107:108], v[117:118], v[105:106]
	v_fma_f64 v[105:106], v[77:78], s[18:19], v[125:126]
	v_mul_f64 v[117:118], v[91:92], s[16:17]
	v_add_f64 v[115:116], v[115:116], v[121:122]
	v_mul_f64 v[121:122], v[85:86], s[24:25]
	v_mul_f64 v[131:132], v[34:35], s[16:17]
	v_fma_f64 v[123:124], v[57:58], s[18:19], -v[123:124]
	v_add_f64 v[111:112], v[111:112], v[119:120]
	v_fma_f64 v[119:120], v[42:43], s[18:19], v[141:142]
	v_add_f64 v[105:106], v[2:3], v[105:106]
	v_fma_f64 v[133:134], v[61:62], s[12:13], v[117:118]
	v_mul_f64 v[135:136], v[89:90], s[34:35]
	v_fma_f64 v[141:142], v[69:70], s[18:19], -v[121:122]
	v_mul_f64 v[143:144], v[71:72], s[16:17]
	v_fma_f64 v[139:140], v[28:29], s[12:13], -v[131:132]
	v_add_f64 v[115:116], v[123:124], v[115:116]
	v_fma_f64 v[123:124], v[38:39], s[14:15], -v[137:138]
	v_add_f64 v[111:112], v[119:120], v[111:112]
	v_add_f64 v[119:120], v[133:134], v[105:106]
	v_fma_f64 v[133:134], v[57:58], s[6:7], v[135:136]
	v_mul_f64 v[137:138], v[79:80], s[30:31]
	v_add_f64 v[141:142], v[0:1], v[141:142]
	v_fma_f64 v[145:146], v[63:64], s[12:13], -v[143:144]
	v_mul_f64 v[147:148], v[65:66], s[34:35]
	v_fma_f64 v[127:128], v[32:33], s[14:15], v[127:128]
	v_add_f64 v[105:106], v[139:140], v[109:110]
	v_add_f64 v[109:110], v[123:124], v[115:116]
	v_fma_f64 v[115:116], v[30:31], s[12:13], -v[129:130]
	v_add_f64 v[119:120], v[133:134], v[119:120]
	v_fma_f64 v[123:124], v[38:39], s[20:21], v[137:138]
	v_add_f64 v[129:130], v[145:146], v[141:142]
	v_fma_f64 v[133:134], v[42:43], s[6:7], -v[147:148]
	v_mul_f64 v[139:140], v[40:41], s[30:31]
	v_mul_f64 v[141:142], v[36:37], s[26:27]
	v_add_f64 v[93:94], v[2:3], v[93:94]
	v_add_f64 v[87:88], v[0:1], v[87:88]
	;; [unrolled: 1-line block ×4, first 2 shown]
	v_fma_f64 v[109:110], v[77:78], s[18:19], -v[125:126]
	v_add_f64 v[115:116], v[123:124], v[119:120]
	v_add_f64 v[119:120], v[133:134], v[129:130]
	v_fma_f64 v[123:124], v[32:33], s[20:21], -v[139:140]
	v_mul_f64 v[125:126], v[34:35], s[26:27]
	v_fma_f64 v[129:130], v[30:31], s[14:15], v[141:142]
	v_add_f64 v[83:84], v[93:94], v[83:84]
	v_add_f64 v[75:76], v[87:88], v[75:76]
	v_mul_f64 v[91:92], v[91:92], s[24:25]
	v_fma_f64 v[131:132], v[28:29], s[12:13], v[131:132]
	v_fma_f64 v[121:122], v[69:70], s[18:19], v[121:122]
	v_add_f64 v[119:120], v[123:124], v[119:120]
	v_fma_f64 v[123:124], v[28:29], s[14:15], -v[125:126]
	v_add_f64 v[115:116], v[129:130], v[115:116]
	v_mul_f64 v[129:130], v[113:114], s[28:29]
	v_add_f64 v[81:82], v[83:84], v[81:82]
	v_add_f64 v[73:74], v[75:76], v[73:74]
	v_mul_f64 v[83:84], v[85:86], s[28:29]
	v_mul_f64 v[85:86], v[89:90], s[22:23]
	;; [unrolled: 1-line block ×3, first 2 shown]
	v_add_f64 v[113:114], v[123:124], v[119:120]
	v_fma_f64 v[117:118], v[61:62], s[12:13], -v[117:118]
	v_fma_f64 v[119:120], v[77:78], s[14:15], v[129:130]
	v_add_f64 v[67:68], v[81:82], v[67:68]
	v_add_f64 v[59:60], v[73:74], v[59:60]
	v_fma_f64 v[75:76], v[77:78], s[14:15], -v[129:130]
	v_fma_f64 v[81:82], v[69:70], s[14:15], -v[83:84]
	v_fma_f64 v[69:70], v[69:70], s[14:15], v[83:84]
	v_add_f64 v[133:134], v[2:3], v[109:110]
	v_add_f64 v[109:110], v[131:132], v[127:128]
	;; [unrolled: 1-line block ×3, first 2 shown]
	v_fma_f64 v[119:120], v[61:62], s[18:19], v[91:92]
	v_add_f64 v[55:56], v[67:68], v[55:56]
	v_add_f64 v[53:54], v[59:60], v[53:54]
	v_fma_f64 v[127:128], v[63:64], s[12:13], v[143:144]
	v_add_f64 v[121:122], v[0:1], v[121:122]
	v_add_f64 v[81:82], v[0:1], v[81:82]
	;; [unrolled: 1-line block ×3, first 2 shown]
	v_mul_f64 v[59:60], v[65:66], s[22:23]
	v_add_f64 v[77:78], v[119:120], v[87:88]
	v_fma_f64 v[87:88], v[57:58], s[20:21], v[85:86]
	v_add_f64 v[51:52], v[55:56], v[51:52]
	v_add_f64 v[49:50], v[53:54], v[49:50]
	;; [unrolled: 1-line block ×3, first 2 shown]
	v_fma_f64 v[61:62], v[61:62], s[18:19], -v[91:92]
	v_add_f64 v[117:118], v[117:118], v[133:134]
	v_fma_f64 v[131:132], v[57:58], s[6:7], -v[135:136]
	v_add_f64 v[121:122], v[127:128], v[121:122]
	v_add_f64 v[77:78], v[87:88], v[77:78]
	v_fma_f64 v[87:88], v[63:64], s[18:19], -v[71:72]
	v_fma_f64 v[63:64], v[63:64], s[18:19], v[71:72]
	v_add_f64 v[26:27], v[51:52], v[26:27]
	v_add_f64 v[24:25], v[49:50], v[24:25]
	v_fma_f64 v[127:128], v[42:43], s[6:7], v[147:148]
	v_mul_f64 v[79:80], v[79:80], s[16:17]
	v_fma_f64 v[53:54], v[42:43], s[20:21], -v[59:60]
	v_fma_f64 v[55:56], v[57:58], s[20:21], -v[85:86]
	v_add_f64 v[2:3], v[61:62], v[2:3]
	v_fma_f64 v[42:43], v[42:43], s[20:21], v[59:60]
	v_mul_f64 v[40:41], v[40:41], s[16:17]
	v_add_f64 v[0:1], v[63:64], v[0:1]
	v_add_f64 v[67:68], v[87:88], v[81:82]
	;; [unrolled: 1-line block ×5, first 2 shown]
	v_fma_f64 v[117:118], v[38:39], s[20:21], -v[137:138]
	v_fma_f64 v[83:84], v[38:39], s[12:13], v[79:80]
	v_fma_f64 v[38:39], v[38:39], s[12:13], -v[79:80]
	v_mul_f64 v[36:37], v[36:37], s[10:11]
	v_add_f64 v[2:3], v[55:56], v[2:3]
	v_fma_f64 v[51:52], v[32:33], s[12:13], v[40:41]
	v_add_f64 v[0:1], v[42:43], v[0:1]
	v_mul_f64 v[24:25], v[34:35], s[10:11]
	v_add_f64 v[121:122], v[127:128], v[121:122]
	v_fma_f64 v[123:124], v[32:33], s[20:21], v[139:140]
	v_add_f64 v[49:50], v[53:54], v[67:68]
	v_fma_f64 v[26:27], v[32:33], s[12:13], -v[40:41]
	v_add_f64 v[22:23], v[14:15], v[22:23]
	v_add_f64 v[12:13], v[12:13], v[20:21]
	v_fma_f64 v[73:74], v[30:31], s[14:15], -v[141:142]
	v_fma_f64 v[32:33], v[30:31], s[6:7], v[36:37]
	v_fma_f64 v[30:31], v[30:31], s[6:7], -v[36:37]
	v_add_f64 v[34:35], v[38:39], v[2:3]
	v_add_f64 v[36:37], v[51:52], v[0:1]
	v_fma_f64 v[20:21], v[28:29], s[6:7], v[24:25]
	v_add_f64 v[89:90], v[117:118], v[93:94]
	v_add_f64 v[93:94], v[123:124], v[121:122]
	v_fma_f64 v[117:118], v[28:29], s[14:15], v[125:126]
	v_fma_f64 v[24:25], v[28:29], s[6:7], -v[24:25]
	v_add_f64 v[26:27], v[26:27], v[49:50]
	v_add_f64 v[65:66], v[83:84], v[77:78]
	v_add_f64 v[18:19], v[22:23], v[18:19]
	v_add_f64 v[16:17], v[12:13], v[16:17]
	v_add_f64 v[14:15], v[30:31], v[34:35]
	v_add_f64 v[12:13], v[20:21], v[36:37]
	v_add_f64 v[2:3], v[73:74], v[89:90]
	v_add_f64 v[0:1], v[117:118], v[93:94]
	v_add_f64 v[20:21], v[24:25], v[26:27]
	v_mov_b32_e32 v25, 4
	v_mul_u32_u24_e32 v24, 0x1ce0, v45
	v_lshlrev_b32_sdwa v25, v25, v96 dst_sel:DWORD dst_unused:UNUSED_PAD src0_sel:DWORD src1_sel:BYTE_0
	v_add3_u32 v24, 0, v24, v25
	v_add_f64 v[22:23], v[32:33], v[65:66]
	ds_write_b128 v24, v[16:19]
	ds_write_b128 v24, v[12:15] offset:672
	ds_write_b128 v24, v[0:3] offset:1344
	;; [unrolled: 1-line block ×10, first 2 shown]
.LBB0_25:
	s_or_b64 exec, exec, s[4:5]
	v_lshlrev_b32_e32 v0, 1, v44
	v_mov_b32_e32 v1, 0
	v_lshlrev_b64 v[2:3], 4, v[0:1]
	v_mov_b32_e32 v0, s9
	v_add_co_u32_e32 v2, vcc, s8, v2
	v_addc_co_u32_e32 v3, vcc, v0, v3, vcc
	s_movk_i32 s4, 0x1cc0
	v_add_co_u32_e32 v10, vcc, s4, v2
	v_addc_co_u32_e32 v11, vcc, 0, v3, vcc
	s_movk_i32 s5, 0x1000
	v_add_co_u32_e32 v12, vcc, s5, v2
	v_addc_co_u32_e32 v13, vcc, 0, v3, vcc
	v_mov_b32_e32 v49, v1
	s_waitcnt lgkmcnt(0)
	s_barrier
	global_load_dwordx4 v[2:5], v[12:13], off offset:3264
	global_load_dwordx4 v[6:9], v[10:11], off offset:16
	v_lshlrev_b64 v[10:11], 4, v[48:49]
	s_mov_b32 s7, 0x3febb67a
	v_add_co_u32_e32 v14, vcc, s8, v10
	v_addc_co_u32_e32 v0, vcc, v0, v11, vcc
	v_add_co_u32_e32 v10, vcc, s5, v14
	v_addc_co_u32_e32 v11, vcc, 0, v0, vcc
	;; [unrolled: 2-line block ×3, first 2 shown]
	global_load_dwordx4 v[10:13], v[10:11], off offset:3264
	s_mov_b32 s4, 0xe8584caa
	global_load_dwordx4 v[14:17], v[14:15], off offset:16
	ds_read_b128 v[18:21], v95
	ds_read_b128 v[22:25], v95 offset:3696
	ds_read_b128 v[26:29], v95 offset:7392
	;; [unrolled: 1-line block ×5, first 2 shown]
	s_mov_b32 s5, 0xbfebb67a
	s_mov_b32 s6, s4
	s_waitcnt vmcnt(0) lgkmcnt(0)
	s_barrier
	v_mul_f64 v[42:43], v[28:29], v[4:5]
	v_mul_f64 v[4:5], v[26:27], v[4:5]
	;; [unrolled: 1-line block ×4, first 2 shown]
	v_fma_f64 v[26:27], v[26:27], v[2:3], v[42:43]
	v_fma_f64 v[2:3], v[28:29], v[2:3], -v[4:5]
	v_fma_f64 v[4:5], v[34:35], v[6:7], v[48:49]
	v_fma_f64 v[6:7], v[36:37], v[6:7], -v[8:9]
	v_mul_f64 v[50:51], v[32:33], v[12:13]
	v_mul_f64 v[12:13], v[30:31], v[12:13]
	;; [unrolled: 1-line block ×4, first 2 shown]
	v_add_f64 v[28:29], v[26:27], v[4:5]
	v_add_f64 v[34:35], v[2:3], v[6:7]
	v_fma_f64 v[8:9], v[30:31], v[10:11], v[50:51]
	v_fma_f64 v[10:11], v[32:33], v[10:11], -v[12:13]
	v_fma_f64 v[12:13], v[38:39], v[14:15], v[52:53]
	v_fma_f64 v[14:15], v[40:41], v[14:15], -v[16:17]
	v_add_f64 v[16:17], v[18:19], v[26:27]
	v_add_f64 v[32:33], v[20:21], v[2:3]
	v_add_f64 v[30:31], v[2:3], -v[6:7]
	v_add_f64 v[26:27], v[26:27], -v[4:5]
	v_add_f64 v[36:37], v[22:23], v[8:9]
	v_add_f64 v[42:43], v[24:25], v[10:11]
	;; [unrolled: 1-line block ×3, first 2 shown]
	v_add_f64 v[40:41], v[10:11], -v[14:15]
	v_add_f64 v[10:11], v[10:11], v[14:15]
	v_fma_f64 v[18:19], v[28:29], -0.5, v[18:19]
	v_add_f64 v[2:3], v[16:17], v[4:5]
	v_fma_f64 v[16:17], v[34:35], -0.5, v[20:21]
	v_add_f64 v[48:49], v[8:9], -v[12:13]
	v_add_f64 v[4:5], v[32:33], v[6:7]
	v_fma_f64 v[20:21], v[38:39], -0.5, v[22:23]
	v_add_f64 v[6:7], v[36:37], v[12:13]
	v_fma_f64 v[24:25], v[10:11], -0.5, v[24:25]
	v_add_f64 v[8:9], v[42:43], v[14:15]
	v_fma_f64 v[10:11], v[30:31], s[4:5], v[18:19]
	v_fma_f64 v[12:13], v[26:27], s[6:7], v[16:17]
	;; [unrolled: 1-line block ×8, first 2 shown]
	ds_write_b128 v95, v[2:5]
	ds_write_b128 v95, v[6:9] offset:3696
	ds_write_b128 v95, v[10:13] offset:7392
	;; [unrolled: 1-line block ×5, first 2 shown]
	s_waitcnt lgkmcnt(0)
	s_barrier
	s_and_saveexec_b64 s[4:5], s[0:1]
	s_cbranch_execz .LBB0_27
; %bb.26:
	v_lshl_add_u32 v12, v44, 4, 0
	v_mov_b32_e32 v45, v1
	ds_read_b128 v[2:5], v12
	v_mov_b32_e32 v0, s3
	v_add_co_u32_e32 v13, vcc, s2, v46
	v_lshlrev_b64 v[6:7], 4, v[44:45]
	v_addc_co_u32_e32 v14, vcc, v0, v47, vcc
	v_add_co_u32_e32 v10, vcc, v13, v6
	v_addc_co_u32_e32 v11, vcc, v14, v7, vcc
	ds_read_b128 v[6:9], v12 offset:3696
	v_add_u32_e32 v0, 0xe7, v44
	s_waitcnt lgkmcnt(1)
	global_store_dwordx4 v[10:11], v[2:5], off
	s_nop 0
	v_lshlrev_b64 v[2:3], 4, v[0:1]
	v_add_u32_e32 v0, 0x1ce, v44
	v_add_co_u32_e32 v2, vcc, v13, v2
	v_addc_co_u32_e32 v3, vcc, v14, v3, vcc
	s_waitcnt lgkmcnt(0)
	global_store_dwordx4 v[2:3], v[6:9], off
	ds_read_b128 v[2:5], v12 offset:7392
	v_lshlrev_b64 v[6:7], 4, v[0:1]
	v_add_u32_e32 v0, 0x2b5, v44
	v_add_co_u32_e32 v10, vcc, v13, v6
	v_addc_co_u32_e32 v11, vcc, v14, v7, vcc
	ds_read_b128 v[6:9], v12 offset:11088
	s_waitcnt lgkmcnt(1)
	global_store_dwordx4 v[10:11], v[2:5], off
	s_nop 0
	v_lshlrev_b64 v[2:3], 4, v[0:1]
	v_add_u32_e32 v0, 0x39c, v44
	v_add_co_u32_e32 v2, vcc, v13, v2
	v_addc_co_u32_e32 v3, vcc, v14, v3, vcc
	s_waitcnt lgkmcnt(0)
	global_store_dwordx4 v[2:3], v[6:9], off
	ds_read_b128 v[2:5], v12 offset:14784
	v_lshlrev_b64 v[6:7], 4, v[0:1]
	v_add_u32_e32 v0, 0x483, v44
	v_add_co_u32_e32 v10, vcc, v13, v6
	v_addc_co_u32_e32 v11, vcc, v14, v7, vcc
	ds_read_b128 v[6:9], v12 offset:18480
	v_lshlrev_b64 v[0:1], 4, v[0:1]
	s_waitcnt lgkmcnt(1)
	global_store_dwordx4 v[10:11], v[2:5], off
	v_add_co_u32_e32 v0, vcc, v13, v0
	v_addc_co_u32_e32 v1, vcc, v14, v1, vcc
	s_waitcnt lgkmcnt(0)
	global_store_dwordx4 v[0:1], v[6:9], off
.LBB0_27:
	s_endpgm
	.section	.rodata,"a",@progbits
	.p2align	6, 0x0
	.amdhsa_kernel fft_rtc_back_len1386_factors_2_7_3_11_3_wgs_231_tpt_231_halfLds_dp_ip_CI_unitstride_sbrr_C2R_dirReg
		.amdhsa_group_segment_fixed_size 0
		.amdhsa_private_segment_fixed_size 0
		.amdhsa_kernarg_size 88
		.amdhsa_user_sgpr_count 6
		.amdhsa_user_sgpr_private_segment_buffer 1
		.amdhsa_user_sgpr_dispatch_ptr 0
		.amdhsa_user_sgpr_queue_ptr 0
		.amdhsa_user_sgpr_kernarg_segment_ptr 1
		.amdhsa_user_sgpr_dispatch_id 0
		.amdhsa_user_sgpr_flat_scratch_init 0
		.amdhsa_user_sgpr_private_segment_size 0
		.amdhsa_uses_dynamic_stack 0
		.amdhsa_system_sgpr_private_segment_wavefront_offset 0
		.amdhsa_system_sgpr_workgroup_id_x 1
		.amdhsa_system_sgpr_workgroup_id_y 0
		.amdhsa_system_sgpr_workgroup_id_z 0
		.amdhsa_system_sgpr_workgroup_info 0
		.amdhsa_system_vgpr_workitem_id 0
		.amdhsa_next_free_vgpr 149
		.amdhsa_next_free_sgpr 36
		.amdhsa_reserve_vcc 1
		.amdhsa_reserve_flat_scratch 0
		.amdhsa_float_round_mode_32 0
		.amdhsa_float_round_mode_16_64 0
		.amdhsa_float_denorm_mode_32 3
		.amdhsa_float_denorm_mode_16_64 3
		.amdhsa_dx10_clamp 1
		.amdhsa_ieee_mode 1
		.amdhsa_fp16_overflow 0
		.amdhsa_exception_fp_ieee_invalid_op 0
		.amdhsa_exception_fp_denorm_src 0
		.amdhsa_exception_fp_ieee_div_zero 0
		.amdhsa_exception_fp_ieee_overflow 0
		.amdhsa_exception_fp_ieee_underflow 0
		.amdhsa_exception_fp_ieee_inexact 0
		.amdhsa_exception_int_div_zero 0
	.end_amdhsa_kernel
	.text
.Lfunc_end0:
	.size	fft_rtc_back_len1386_factors_2_7_3_11_3_wgs_231_tpt_231_halfLds_dp_ip_CI_unitstride_sbrr_C2R_dirReg, .Lfunc_end0-fft_rtc_back_len1386_factors_2_7_3_11_3_wgs_231_tpt_231_halfLds_dp_ip_CI_unitstride_sbrr_C2R_dirReg
                                        ; -- End function
	.section	.AMDGPU.csdata,"",@progbits
; Kernel info:
; codeLenInByte = 8340
; NumSgprs: 40
; NumVgprs: 149
; ScratchSize: 0
; MemoryBound: 0
; FloatMode: 240
; IeeeMode: 1
; LDSByteSize: 0 bytes/workgroup (compile time only)
; SGPRBlocks: 4
; VGPRBlocks: 37
; NumSGPRsForWavesPerEU: 40
; NumVGPRsForWavesPerEU: 149
; Occupancy: 1
; WaveLimiterHint : 1
; COMPUTE_PGM_RSRC2:SCRATCH_EN: 0
; COMPUTE_PGM_RSRC2:USER_SGPR: 6
; COMPUTE_PGM_RSRC2:TRAP_HANDLER: 0
; COMPUTE_PGM_RSRC2:TGID_X_EN: 1
; COMPUTE_PGM_RSRC2:TGID_Y_EN: 0
; COMPUTE_PGM_RSRC2:TGID_Z_EN: 0
; COMPUTE_PGM_RSRC2:TIDIG_COMP_CNT: 0
	.type	__hip_cuid_a82e869d431c86de,@object ; @__hip_cuid_a82e869d431c86de
	.section	.bss,"aw",@nobits
	.globl	__hip_cuid_a82e869d431c86de
__hip_cuid_a82e869d431c86de:
	.byte	0                               ; 0x0
	.size	__hip_cuid_a82e869d431c86de, 1

	.ident	"AMD clang version 19.0.0git (https://github.com/RadeonOpenCompute/llvm-project roc-6.4.0 25133 c7fe45cf4b819c5991fe208aaa96edf142730f1d)"
	.section	".note.GNU-stack","",@progbits
	.addrsig
	.addrsig_sym __hip_cuid_a82e869d431c86de
	.amdgpu_metadata
---
amdhsa.kernels:
  - .args:
      - .actual_access:  read_only
        .address_space:  global
        .offset:         0
        .size:           8
        .value_kind:     global_buffer
      - .offset:         8
        .size:           8
        .value_kind:     by_value
      - .actual_access:  read_only
        .address_space:  global
        .offset:         16
        .size:           8
        .value_kind:     global_buffer
      - .actual_access:  read_only
        .address_space:  global
        .offset:         24
        .size:           8
        .value_kind:     global_buffer
      - .offset:         32
        .size:           8
        .value_kind:     by_value
      - .actual_access:  read_only
        .address_space:  global
        .offset:         40
        .size:           8
        .value_kind:     global_buffer
      - .actual_access:  read_only
        .address_space:  global
        .offset:         48
        .size:           8
        .value_kind:     global_buffer
      - .offset:         56
        .size:           4
        .value_kind:     by_value
      - .actual_access:  read_only
        .address_space:  global
        .offset:         64
        .size:           8
        .value_kind:     global_buffer
      - .actual_access:  read_only
        .address_space:  global
        .offset:         72
        .size:           8
        .value_kind:     global_buffer
      - .address_space:  global
        .offset:         80
        .size:           8
        .value_kind:     global_buffer
    .group_segment_fixed_size: 0
    .kernarg_segment_align: 8
    .kernarg_segment_size: 88
    .language:       OpenCL C
    .language_version:
      - 2
      - 0
    .max_flat_workgroup_size: 231
    .name:           fft_rtc_back_len1386_factors_2_7_3_11_3_wgs_231_tpt_231_halfLds_dp_ip_CI_unitstride_sbrr_C2R_dirReg
    .private_segment_fixed_size: 0
    .sgpr_count:     40
    .sgpr_spill_count: 0
    .symbol:         fft_rtc_back_len1386_factors_2_7_3_11_3_wgs_231_tpt_231_halfLds_dp_ip_CI_unitstride_sbrr_C2R_dirReg.kd
    .uniform_work_group_size: 1
    .uses_dynamic_stack: false
    .vgpr_count:     149
    .vgpr_spill_count: 0
    .wavefront_size: 64
amdhsa.target:   amdgcn-amd-amdhsa--gfx906
amdhsa.version:
  - 1
  - 2
...

	.end_amdgpu_metadata
